;; amdgpu-corpus repo=ROCm/rocFFT kind=compiled arch=gfx906 opt=O3
	.text
	.amdgcn_target "amdgcn-amd-amdhsa--gfx906"
	.amdhsa_code_object_version 6
	.protected	bluestein_single_fwd_len35_dim1_sp_op_CI_CI ; -- Begin function bluestein_single_fwd_len35_dim1_sp_op_CI_CI
	.globl	bluestein_single_fwd_len35_dim1_sp_op_CI_CI
	.p2align	8
	.type	bluestein_single_fwd_len35_dim1_sp_op_CI_CI,@function
bluestein_single_fwd_len35_dim1_sp_op_CI_CI: ; @bluestein_single_fwd_len35_dim1_sp_op_CI_CI
; %bb.0:
	v_mul_u32_u24_e32 v1, 0x2493, v0
	s_load_dwordx4 s[8:11], s[4:5], 0x28
	v_lshrrev_b32_e32 v1, 16, v1
	v_mad_u64_u32 v[24:25], s[0:1], s6, 36, v[1:2]
	v_mov_b32_e32 v25, 0
	s_waitcnt lgkmcnt(0)
	v_cmp_gt_u64_e32 vcc, s[8:9], v[24:25]
	s_and_saveexec_b64 s[0:1], vcc
	s_cbranch_execz .LBB0_10
; %bb.1:
	s_load_dwordx4 s[0:3], s[4:5], 0x18
	s_load_dwordx4 s[12:15], s[4:5], 0x0
	v_mul_lo_u16_e32 v1, 7, v1
	v_sub_u16_e32 v39, v0, v1
	v_lshlrev_b32_e32 v42, 3, v39
	s_waitcnt lgkmcnt(0)
	s_load_dwordx4 s[16:19], s[0:1], 0x0
                                        ; implicit-def: $vgpr37
	s_waitcnt lgkmcnt(0)
	v_mad_u64_u32 v[0:1], s[0:1], s18, v24, 0
	v_mad_u64_u32 v[2:3], s[0:1], s16, v39, 0
	;; [unrolled: 1-line block ×4, first 2 shown]
	v_mov_b32_e32 v1, v4
	v_lshlrev_b64 v[0:1], 3, v[0:1]
	v_mov_b32_e32 v6, s11
	v_mov_b32_e32 v3, v5
	v_add_co_u32_e32 v4, vcc, s10, v0
	v_addc_co_u32_e32 v5, vcc, v6, v1, vcc
	v_lshlrev_b64 v[0:1], 3, v[2:3]
	s_mul_i32 s0, s17, 56
	v_add_co_u32_e32 v0, vcc, v4, v0
	s_mul_hi_u32 s1, s16, 56
	v_addc_co_u32_e32 v1, vcc, v5, v1, vcc
	s_add_i32 s0, s1, s0
	s_mul_i32 s1, s16, 56
	global_load_dwordx2 v[2:3], v[0:1], off
	v_mov_b32_e32 v4, s0
	v_add_co_u32_e32 v0, vcc, s1, v0
	v_addc_co_u32_e32 v1, vcc, v1, v4, vcc
	global_load_dwordx2 v[4:5], v[0:1], off
	v_mov_b32_e32 v6, s0
	v_add_co_u32_e32 v0, vcc, s1, v0
	v_addc_co_u32_e32 v1, vcc, v1, v6, vcc
	v_mov_b32_e32 v7, s0
	v_add_co_u32_e32 v6, vcc, s1, v0
	v_addc_co_u32_e32 v7, vcc, v1, v7, vcc
	global_load_dwordx2 v[33:34], v42, s[12:13]
	global_load_dwordx2 v[31:32], v42, s[12:13] offset:56
	global_load_dwordx2 v[29:30], v42, s[12:13] offset:112
	global_load_dwordx2 v[8:9], v[0:1], off
	global_load_dwordx2 v[10:11], v[6:7], off
	global_load_dwordx2 v[27:28], v42, s[12:13] offset:168
	v_mov_b32_e32 v1, s0
	v_add_co_u32_e32 v0, vcc, s1, v6
	v_addc_co_u32_e32 v1, vcc, v7, v1, vcc
	global_load_dwordx2 v[25:26], v42, s[12:13] offset:224
	global_load_dwordx2 v[6:7], v[0:1], off
	s_mov_b32 s0, 0x38e38e39
	v_mul_hi_u32 v0, v24, s0
	s_load_dwordx4 s[8:11], s[2:3], 0x0
	v_add_co_u32_e32 v35, vcc, s12, v42
	v_lshrrev_b32_e32 v0, 3, v0
	v_mul_lo_u32 v0, v0, 36
	s_load_dwordx2 s[2:3], s[4:5], 0x38
	v_sub_u32_e32 v0, v24, v0
	v_mul_u32_u24_e32 v0, 35, v0
	v_lshlrev_b32_e32 v41, 3, v0
	v_add_u32_e32 v40, v42, v41
	s_waitcnt vmcnt(7)
	v_mul_f32_e32 v0, v3, v34
	v_mul_f32_e32 v1, v2, v34
	v_fmac_f32_e32 v0, v2, v33
	v_fma_f32 v1, v3, v33, -v1
	s_waitcnt vmcnt(6)
	v_mul_f32_e32 v2, v5, v32
	v_mul_f32_e32 v3, v4, v32
	v_fmac_f32_e32 v2, v4, v31
	v_fma_f32 v3, v5, v31, -v3
	s_waitcnt vmcnt(4)
	v_mul_f32_e32 v4, v9, v30
	v_mul_f32_e32 v5, v8, v30
	ds_write2_b64 v40, v[0:1], v[2:3] offset1:7
	s_waitcnt vmcnt(2)
	v_mul_f32_e32 v0, v11, v28
	v_mul_f32_e32 v1, v10, v28
	s_waitcnt vmcnt(0)
	v_mul_f32_e32 v2, v7, v26
	v_mul_f32_e32 v3, v6, v26
	v_fmac_f32_e32 v4, v8, v29
	v_fma_f32 v5, v9, v29, -v5
	v_fmac_f32_e32 v0, v10, v27
	v_fma_f32 v1, v11, v27, -v1
	;; [unrolled: 2-line block ×3, first 2 shown]
	ds_write2_b64 v40, v[4:5], v[0:1] offset0:14 offset1:21
	ds_write_b64 v40, v[2:3] offset:224
	s_waitcnt lgkmcnt(0)
	s_barrier
	ds_read2_b64 v[0:3], v40 offset1:7
	ds_read2_b64 v[4:7], v40 offset0:14 offset1:21
	ds_read_b64 v[8:9], v40 offset:224
	s_waitcnt lgkmcnt(0)
	s_barrier
	v_add_f32_e32 v10, v0, v2
	v_add_f32_e32 v11, v4, v6
	;; [unrolled: 1-line block ×6, first 2 shown]
	v_fma_f32 v16, -0.5, v11, v0
	v_fma_f32 v22, -0.5, v12, v0
	v_add_f32_e32 v0, v10, v4
	v_sub_f32_e32 v15, v3, v9
	v_fma_f32 v17, -0.5, v13, v1
	v_fma_f32 v23, -0.5, v14, v1
	v_add_f32_e32 v0, v0, v6
	v_add_f32_e32 v1, v20, v5
	v_mov_b32_e32 v14, v16
	v_sub_f32_e32 v18, v2, v4
	v_sub_f32_e32 v21, v3, v5
	;; [unrolled: 1-line block ×3, first 2 shown]
	v_add_f32_e32 v1, v1, v7
	v_add_f32_e32 v12, v0, v8
	v_sub_f32_e32 v0, v8, v6
	v_sub_f32_e32 v5, v5, v7
	v_fmac_f32_e32 v14, 0x3f737871, v15
	v_fmac_f32_e32 v16, 0xbf737871, v15
	v_mov_b32_e32 v20, v22
	v_sub_f32_e32 v19, v4, v2
	v_add_f32_e32 v13, v1, v9
	v_sub_f32_e32 v1, v6, v8
	v_add_f32_e32 v0, v18, v0
	v_fmac_f32_e32 v14, 0x3f167918, v5
	v_fmac_f32_e32 v16, 0xbf167918, v5
	;; [unrolled: 1-line block ×4, first 2 shown]
	v_sub_f32_e32 v2, v2, v8
	v_sub_f32_e32 v8, v9, v7
	v_fmac_f32_e32 v14, 0x3e9e377a, v0
	v_fmac_f32_e32 v16, 0x3e9e377a, v0
	v_add_f32_e32 v0, v19, v1
	v_fmac_f32_e32 v20, 0x3f167918, v15
	v_fmac_f32_e32 v22, 0xbf167918, v15
	v_mov_b32_e32 v15, v17
	v_sub_f32_e32 v4, v4, v6
	v_fmac_f32_e32 v20, 0x3e9e377a, v0
	v_fmac_f32_e32 v22, 0x3e9e377a, v0
	;; [unrolled: 1-line block ×3, first 2 shown]
	v_add_f32_e32 v0, v21, v8
	v_fmac_f32_e32 v17, 0x3f737871, v2
	v_mov_b32_e32 v21, v23
	v_sub_f32_e32 v9, v7, v9
	v_fmac_f32_e32 v15, 0xbf167918, v4
	v_fmac_f32_e32 v17, 0x3f167918, v4
	;; [unrolled: 1-line block ×4, first 2 shown]
	v_mov_b32_e32 v6, s13
	v_fmac_f32_e32 v15, 0x3e9e377a, v0
	v_fmac_f32_e32 v17, 0x3e9e377a, v0
	;; [unrolled: 1-line block ×3, first 2 shown]
	v_add_f32_e32 v0, v3, v9
	v_fmac_f32_e32 v23, 0x3f167918, v2
	v_addc_co_u32_e32 v36, vcc, 0, v6, vcc
	v_fmac_f32_e32 v21, 0x3e9e377a, v0
	v_fmac_f32_e32 v23, 0x3e9e377a, v0
	v_mul_lo_u16_e32 v0, 5, v39
	v_lshl_add_u32 v43, v0, 3, v41
	v_cmp_gt_u16_e32 vcc, 5, v39
	ds_write2_b64 v43, v[12:13], v[14:15] offset1:1
	ds_write2_b64 v43, v[20:21], v[22:23] offset0:2 offset1:3
	ds_write_b64 v43, v[16:17] offset:32
	s_waitcnt lgkmcnt(0)
	s_barrier
	s_and_saveexec_b64 s[0:1], vcc
	s_cbranch_execz .LBB0_3
; %bb.2:
	ds_read2_b64 v[12:15], v40 offset1:5
	ds_read2_b64 v[20:23], v40 offset0:10 offset1:15
	ds_read2_b64 v[16:19], v40 offset0:20 offset1:25
	ds_read_b64 v[37:38], v40 offset:240
.LBB0_3:
	s_or_b64 exec, exec, s[0:1]
	v_add_u32_e32 v0, -5, v39
	v_cndmask_b32_e32 v0, v0, v39, vcc
	v_mul_hi_i32_i24_e32 v1, 6, v0
	v_mul_i32_i24_e32 v0, 6, v0
	v_lshlrev_b64 v[0:1], 3, v[0:1]
	v_mov_b32_e32 v2, s15
	v_add_co_u32_e64 v44, s[0:1], s14, v0
	v_addc_co_u32_e64 v45, s[0:1], v2, v1, s[0:1]
	global_load_dwordx4 v[0:3], v[44:45], off
	global_load_dwordx4 v[8:11], v[44:45], off offset:16
	global_load_dwordx4 v[4:7], v[44:45], off offset:32
	s_mov_b32 s0, 0xbf3bfb3b
	s_mov_b32 s1, 0xbeae86e6
	s_waitcnt vmcnt(2) lgkmcnt(3)
	v_mul_f32_e32 v44, v15, v1
	v_mul_f32_e32 v45, v14, v1
	s_waitcnt lgkmcnt(2)
	v_mul_f32_e32 v46, v21, v3
	v_mul_f32_e32 v47, v20, v3
	s_waitcnt vmcnt(1) lgkmcnt(1)
	v_mul_f32_e32 v50, v17, v11
	v_mul_f32_e32 v51, v16, v11
	s_waitcnt vmcnt(0)
	v_mul_f32_e32 v52, v19, v5
	v_mul_f32_e32 v53, v18, v5
	s_waitcnt lgkmcnt(0)
	v_mul_f32_e32 v54, v38, v7
	v_mul_f32_e32 v55, v37, v7
	;; [unrolled: 1-line block ×4, first 2 shown]
	v_fma_f32 v20, v20, v2, -v46
	v_fmac_f32_e32 v47, v21, v2
	v_fma_f32 v14, v14, v0, -v44
	v_fmac_f32_e32 v45, v15, v0
	;; [unrolled: 2-line block ×6, first 2 shown]
	v_add_f32_e32 v18, v14, v17
	v_add_f32_e32 v19, v45, v55
	;; [unrolled: 1-line block ×4, first 2 shown]
	v_sub_f32_e32 v22, v45, v55
	v_sub_f32_e32 v20, v20, v16
	;; [unrolled: 1-line block ×3, first 2 shown]
	v_add_f32_e32 v44, v21, v15
	v_add_f32_e32 v45, v49, v51
	v_sub_f32_e32 v15, v15, v21
	v_sub_f32_e32 v21, v51, v49
	v_add_f32_e32 v46, v23, v18
	v_add_f32_e32 v47, v37, v19
	v_sub_f32_e32 v14, v14, v17
	v_sub_f32_e32 v16, v23, v18
	;; [unrolled: 1-line block ×4, first 2 shown]
	v_add_f32_e32 v23, v15, v20
	v_sub_f32_e32 v50, v15, v20
	v_sub_f32_e32 v51, v21, v38
	v_add_f32_e32 v53, v44, v46
	v_add_f32_e32 v54, v45, v47
	v_sub_f32_e32 v17, v37, v19
	v_sub_f32_e32 v49, v19, v45
	;; [unrolled: 1-line block ×3, first 2 shown]
	v_add_f32_e32 v37, v21, v38
	v_sub_f32_e32 v52, v22, v21
	v_sub_f32_e32 v21, v20, v14
	v_sub_f32_e32 v38, v38, v22
	v_add_f32_e32 v45, v23, v14
	v_mul_f32_e32 v23, 0xbf08b237, v50
	v_mul_f32_e32 v20, 0xbf08b237, v51
	v_add_f32_e32 v12, v12, v53
	v_add_f32_e32 v13, v13, v54
	v_sub_f32_e32 v15, v14, v15
	v_add_f32_e32 v46, v37, v22
	v_mul_f32_e32 v14, 0x3f4a47b2, v48
	v_mul_f32_e32 v37, 0x3f4a47b2, v49
	;; [unrolled: 1-line block ×4, first 2 shown]
	v_mov_b32_e32 v21, v23
	v_mov_b32_e32 v22, v20
	;; [unrolled: 1-line block ×4, first 2 shown]
	v_fma_f32 v38, v16, s0, -v14
	v_fmac_f32_e32 v14, 0x3d64c772, v18
	v_fma_f32 v56, v17, s0, -v37
	v_fmac_f32_e32 v37, 0x3d64c772, v19
	v_fma_f32 v48, v15, s1, -v47
	v_fma_f32 v49, v52, s1, -v44
	v_fmac_f32_e32 v21, 0x3eae86e6, v15
	v_fmac_f32_e32 v22, 0x3eae86e6, v52
	;; [unrolled: 1-line block ×4, first 2 shown]
	v_add_f32_e32 v50, v14, v51
	v_add_f32_e32 v52, v37, v55
	;; [unrolled: 1-line block ×4, first 2 shown]
	v_fmac_f32_e32 v21, 0x3ee1c552, v45
	v_fmac_f32_e32 v22, 0x3ee1c552, v46
	;; [unrolled: 1-line block ×4, first 2 shown]
	v_sub_f32_e32 v14, v53, v49
	v_add_f32_e32 v15, v48, v54
	v_sub_f32_e32 v37, v50, v22
	v_add_f32_e32 v38, v21, v52
	s_and_saveexec_b64 s[0:1], vcc
	s_cbranch_execz .LBB0_5
; %bb.4:
	v_mul_f32_e32 v18, 0x3d64c772, v18
	v_mul_f32_e32 v19, 0x3d64c772, v19
	;; [unrolled: 1-line block ×5, first 2 shown]
	v_sub_f32_e32 v17, v17, v19
	v_sub_f32_e32 v20, v44, v20
	;; [unrolled: 1-line block ×3, first 2 shown]
	v_mul_f32_e32 v45, 0x3ee1c552, v45
	v_add_f32_e32 v19, v17, v55
	v_sub_f32_e32 v17, v47, v23
	v_add_f32_e32 v20, v46, v20
	v_add_f32_e32 v18, v16, v51
	;; [unrolled: 1-line block ×4, first 2 shown]
	v_sub_f32_e32 v18, v18, v20
	v_sub_f32_e32 v45, v54, v48
	v_add_f32_e32 v44, v49, v53
	v_sub_f32_e32 v21, v52, v21
	v_add_f32_e32 v20, v22, v50
	ds_write_b64 v40, v[12:13]
	v_lshl_add_u32 v12, v39, 3, v41
	v_sub_f32_e32 v17, v19, v23
	v_add_f32_e32 v19, v23, v19
	ds_write2_b64 v12, v[20:21], v[44:45] offset0:5 offset1:10
	ds_write2_b64 v12, v[18:19], v[16:17] offset0:15 offset1:20
	;; [unrolled: 1-line block ×3, first 2 shown]
.LBB0_5:
	s_or_b64 exec, exec, s[0:1]
	s_waitcnt lgkmcnt(0)
	s_barrier
	global_load_dwordx2 v[12:13], v[35:36], off offset:280
	s_add_u32 s0, s12, 0x118
	s_addc_u32 s1, s13, 0
	global_load_dwordx2 v[35:36], v42, s[0:1] offset:56
	global_load_dwordx2 v[44:45], v42, s[0:1] offset:224
	;; [unrolled: 1-line block ×4, first 2 shown]
	ds_read2_b64 v[16:19], v40 offset1:7
	ds_read_b64 v[50:51], v40 offset:224
	s_waitcnt vmcnt(4) lgkmcnt(1)
	v_mul_f32_e32 v20, v17, v13
	v_mul_f32_e32 v21, v16, v13
	v_fma_f32 v20, v16, v12, -v20
	v_fmac_f32_e32 v21, v17, v12
	ds_write_b64 v40, v[20:21]
	ds_read2_b64 v[20:23], v40 offset0:14 offset1:21
	s_waitcnt vmcnt(3)
	v_mul_f32_e32 v12, v19, v36
	v_mul_f32_e32 v13, v18, v36
	s_waitcnt vmcnt(2) lgkmcnt(2)
	v_mul_f32_e32 v16, v51, v45
	v_mul_f32_e32 v17, v50, v45
	v_fma_f32 v12, v18, v35, -v12
	v_fmac_f32_e32 v13, v19, v35
	s_waitcnt vmcnt(1) lgkmcnt(0)
	v_mul_f32_e32 v18, v21, v47
	v_mul_f32_e32 v19, v20, v47
	s_waitcnt vmcnt(0)
	v_mul_f32_e32 v35, v23, v49
	v_mul_f32_e32 v36, v22, v49
	v_fma_f32 v16, v50, v44, -v16
	v_fmac_f32_e32 v17, v51, v44
	v_fma_f32 v18, v20, v46, -v18
	v_fmac_f32_e32 v19, v21, v46
	;; [unrolled: 2-line block ×3, first 2 shown]
	ds_write2_b64 v40, v[12:13], v[18:19] offset0:7 offset1:14
	ds_write2_b64 v40, v[35:36], v[16:17] offset0:21 offset1:28
	s_waitcnt lgkmcnt(0)
	s_barrier
	ds_read2_b64 v[16:19], v40 offset1:7
	ds_read2_b64 v[44:47], v40 offset0:14 offset1:21
	ds_read_b64 v[35:36], v40 offset:224
	s_waitcnt lgkmcnt(0)
	s_barrier
	v_add_f32_e32 v12, v16, v18
	v_add_f32_e32 v13, v44, v46
	;; [unrolled: 1-line block ×3, first 2 shown]
	v_sub_f32_e32 v23, v44, v18
	v_sub_f32_e32 v49, v46, v35
	v_add_f32_e32 v51, v45, v47
	v_add_f32_e32 v55, v19, v36
	v_sub_f32_e32 v42, v19, v36
	v_sub_f32_e32 v20, v18, v44
	;; [unrolled: 1-line block ×3, first 2 shown]
	v_add_f32_e32 v50, v17, v19
	v_sub_f32_e32 v52, v18, v35
	v_sub_f32_e32 v53, v44, v46
	;; [unrolled: 1-line block ×6, first 2 shown]
	v_add_f32_e32 v44, v12, v44
	v_fma_f32 v12, -0.5, v13, v16
	v_fma_f32 v22, -0.5, v22, v16
	v_add_f32_e32 v49, v23, v49
	v_fma_f32 v13, -0.5, v51, v17
	v_fma_f32 v23, -0.5, v55, v17
	v_sub_f32_e32 v48, v45, v47
	v_add_f32_e32 v57, v20, v21
	v_add_f32_e32 v16, v50, v45
	;; [unrolled: 1-line block ×4, first 2 shown]
	v_mov_b32_e32 v18, v12
	v_mov_b32_e32 v20, v22
	;; [unrolled: 1-line block ×4, first 2 shown]
	v_fmac_f32_e32 v12, 0x3f737871, v42
	v_fmac_f32_e32 v22, 0xbf737871, v48
	;; [unrolled: 1-line block ×8, first 2 shown]
	v_add_f32_e32 v17, v44, v46
	v_add_f32_e32 v44, v16, v47
	v_fmac_f32_e32 v12, 0x3f167918, v48
	v_fmac_f32_e32 v22, 0x3f167918, v42
	;; [unrolled: 1-line block ×8, first 2 shown]
	v_add_f32_e32 v16, v17, v35
	v_add_f32_e32 v17, v44, v36
	v_fmac_f32_e32 v12, 0x3e9e377a, v57
	v_fmac_f32_e32 v22, 0x3e9e377a, v49
	;; [unrolled: 1-line block ×8, first 2 shown]
	ds_write2_b64 v43, v[16:17], v[18:19] offset1:1
	ds_write2_b64 v43, v[20:21], v[22:23] offset0:2 offset1:3
	ds_write_b64 v43, v[12:13] offset:32
	s_waitcnt lgkmcnt(0)
	s_barrier
	s_and_saveexec_b64 s[0:1], vcc
	s_cbranch_execz .LBB0_7
; %bb.6:
	ds_read2_b64 v[16:19], v40 offset1:5
	ds_read2_b64 v[20:23], v40 offset0:10 offset1:15
	ds_read2_b64 v[12:15], v40 offset0:20 offset1:25
	ds_read_b64 v[37:38], v40 offset:240
.LBB0_7:
	s_or_b64 exec, exec, s[0:1]
	s_and_saveexec_b64 s[0:1], vcc
	s_cbranch_execz .LBB0_9
; %bb.8:
	s_waitcnt lgkmcnt(3)
	v_mul_f32_e32 v35, v1, v19
	s_waitcnt lgkmcnt(0)
	v_mul_f32_e32 v36, v7, v38
	v_mul_f32_e32 v7, v7, v37
	;; [unrolled: 1-line block ×3, first 2 shown]
	v_fmac_f32_e32 v35, v0, v18
	v_fmac_f32_e32 v36, v6, v37
	v_mul_f32_e32 v44, v9, v23
	v_fma_f32 v6, v6, v38, -v7
	v_fma_f32 v7, v0, v19, -v1
	v_mul_f32_e32 v0, v9, v22
	v_fmac_f32_e32 v44, v8, v22
	v_fma_f32 v8, v8, v23, -v0
	v_mul_f32_e32 v0, v11, v12
	v_fma_f32 v9, v10, v13, -v0
	v_add_f32_e32 v18, v6, v7
	v_add_f32_e32 v0, v8, v9
	v_mul_f32_e32 v43, v11, v13
	v_sub_f32_e32 v1, v18, v0
	v_fmac_f32_e32 v43, v10, v12
	v_mul_f32_e32 v48, v5, v15
	v_mul_f32_e32 v10, 0x3f4a47b2, v1
	;; [unrolled: 1-line block ×4, first 2 shown]
	v_fmac_f32_e32 v48, v4, v14
	v_fma_f32 v4, v4, v15, -v1
	v_mul_f32_e32 v1, v3, v20
	v_fmac_f32_e32 v47, v2, v20
	v_fma_f32 v2, v2, v21, -v1
	v_add_f32_e32 v5, v4, v2
	v_sub_f32_e32 v1, v0, v5
	v_mov_b32_e32 v3, v10
	v_mul_f32_e32 v11, 0x3d64c772, v1
	v_fmac_f32_e32 v3, 0x3d64c772, v1
	v_add_f32_e32 v1, v5, v18
	v_add_f32_e32 v0, v0, v1
	;; [unrolled: 1-line block ×3, first 2 shown]
	v_mov_b32_e32 v12, v1
	v_fmac_f32_e32 v12, 0xbf955555, v0
	v_add_f32_e32 v14, v36, v35
	v_add_f32_e32 v0, v44, v43
	v_sub_f32_e32 v15, v14, v0
	v_mul_f32_e32 v15, 0x3f4a47b2, v15
	v_add_f32_e32 v17, v48, v47
	v_sub_f32_e32 v19, v0, v17
	v_mov_b32_e32 v21, v15
	v_mul_f32_e32 v20, 0x3d64c772, v19
	v_fmac_f32_e32 v21, 0x3d64c772, v19
	v_add_f32_e32 v19, v17, v14
	v_sub_f32_e32 v6, v7, v6
	v_sub_f32_e32 v7, v9, v8
	v_sub_f32_e32 v4, v2, v4
	v_add_f32_e32 v19, v0, v19
	v_sub_f32_e32 v2, v7, v4
	v_sub_f32_e32 v42, v35, v36
	;; [unrolled: 1-line block ×3, first 2 shown]
	v_add_f32_e32 v0, v16, v19
	v_mul_f32_e32 v9, 0x3f08b237, v2
	v_add_f32_e32 v2, v7, v4
	v_sub_f32_e32 v45, v43, v44
	v_mov_b32_e32 v16, v0
	v_sub_f32_e32 v8, v6, v7
	v_add_f32_e32 v22, v2, v6
	v_sub_f32_e32 v7, v49, v42
	v_sub_f32_e32 v6, v4, v6
	;; [unrolled: 1-line block ×4, first 2 shown]
	v_fmac_f32_e32 v16, 0xbf955555, v19
	v_mul_f32_e32 v23, 0xbf5ff5aa, v7
	s_mov_b32 s5, 0x3eae86e6
	v_mul_f32_e32 v4, 0xbf5ff5aa, v6
	v_mul_f32_e32 v50, 0x3f08b237, v50
	v_add_f32_e32 v19, v21, v16
	v_mov_b32_e32 v21, v9
	v_fma_f32 v23, v46, s5, -v23
	v_sub_f32_e32 v18, v5, v18
	s_mov_b32 s6, 0xbf3bfb3b
	v_sub_f32_e32 v14, v17, v14
	v_fma_f32 v17, v8, s5, -v4
	s_mov_b32 s5, 0x3f3bfb3b
	v_mov_b32_e32 v51, v50
	v_add_f32_e32 v45, v45, v49
	v_fmac_f32_e32 v21, 0xbeae86e6, v8
	s_mov_b32 s4, 0xbf5ff5aa
	v_fma_f32 v5, v18, s6, -v10
	v_fma_f32 v8, v18, s5, -v11
	v_fmac_f32_e32 v51, 0xbeae86e6, v46
	v_add_f32_e32 v45, v45, v42
	v_add_f32_e32 v13, v3, v12
	;; [unrolled: 1-line block ×3, first 2 shown]
	v_fma_f32 v15, v14, s6, -v15
	v_add_f32_e32 v8, v8, v12
	v_fma_f32 v11, v7, s4, -v50
	v_fma_f32 v12, v6, s4, -v9
	;; [unrolled: 1-line block ×3, first 2 shown]
	v_fmac_f32_e32 v51, 0xbee1c552, v45
	v_fmac_f32_e32 v21, 0xbee1c552, v22
	;; [unrolled: 1-line block ×3, first 2 shown]
	v_add_f32_e32 v15, v15, v16
	v_fmac_f32_e32 v17, 0xbee1c552, v22
	v_fmac_f32_e32 v11, 0xbee1c552, v45
	;; [unrolled: 1-line block ×3, first 2 shown]
	v_add_f32_e32 v14, v6, v16
	v_add_f32_e32 v3, v51, v13
	;; [unrolled: 1-line block ×3, first 2 shown]
	v_sub_f32_e32 v7, v8, v11
	v_add_f32_e32 v6, v12, v14
	v_add_f32_e32 v9, v11, v8
	v_sub_f32_e32 v8, v14, v12
	v_sub_f32_e32 v11, v10, v23
	v_add_f32_e32 v10, v17, v15
	v_sub_f32_e32 v13, v13, v51
	v_add_f32_e32 v12, v21, v19
	ds_write_b64 v40, v[0:1]
	v_lshl_add_u32 v0, v39, 3, v41
	v_sub_f32_e32 v2, v19, v21
	v_sub_f32_e32 v4, v15, v17
	ds_write2_b64 v0, v[12:13], v[10:11] offset0:5 offset1:10
	ds_write2_b64 v0, v[8:9], v[6:7] offset0:15 offset1:20
	;; [unrolled: 1-line block ×3, first 2 shown]
.LBB0_9:
	s_or_b64 exec, exec, s[0:1]
	s_waitcnt lgkmcnt(0)
	s_barrier
	ds_read2_b64 v[0:3], v40 offset1:7
	v_mad_u64_u32 v[4:5], s[0:1], s10, v24, 0
	s_mov_b32 s0, 0x1d41d41d
	s_mov_b32 s1, 0x3f9d41d4
	s_waitcnt lgkmcnt(0)
	v_mul_f32_e32 v6, v34, v1
	v_fmac_f32_e32 v6, v33, v0
	v_cvt_f64_f32_e32 v[6:7], v6
	v_mul_f32_e32 v0, v34, v0
	v_fma_f32 v0, v33, v1, -v0
	v_cvt_f64_f32_e32 v[0:1], v0
	v_mul_f64 v[6:7], v[6:7], s[0:1]
	v_mad_u64_u32 v[8:9], s[4:5], s8, v39, 0
	v_mul_f64 v[0:1], v[0:1], s[0:1]
	v_mad_u64_u32 v[10:11], s[4:5], s11, v24, v[5:6]
	v_mov_b32_e32 v5, v9
	v_mad_u64_u32 v[11:12], s[4:5], s9, v39, v[5:6]
	v_mov_b32_e32 v5, v10
	v_cvt_f32_f64_e32 v6, v[6:7]
	v_cvt_f32_f64_e32 v7, v[0:1]
	v_lshlrev_b64 v[0:1], 3, v[4:5]
	v_mul_f32_e32 v4, v32, v3
	v_fmac_f32_e32 v4, v31, v2
	v_mul_f32_e32 v2, v32, v2
	v_fma_f32 v2, v31, v3, -v2
	v_mov_b32_e32 v9, v11
	v_mov_b32_e32 v10, s3
	v_cvt_f64_f32_e32 v[2:3], v2
	v_add_co_u32_e32 v11, vcc, s2, v0
	v_addc_co_u32_e32 v12, vcc, v10, v1, vcc
	v_lshlrev_b64 v[0:1], 3, v[8:9]
	v_mul_f64 v[8:9], v[2:3], s[0:1]
	v_add_co_u32_e32 v10, vcc, v11, v0
	v_addc_co_u32_e32 v11, vcc, v12, v1, vcc
	ds_read2_b64 v[0:3], v40 offset0:14 offset1:21
	v_cvt_f64_f32_e32 v[4:5], v4
	global_store_dwordx2 v[10:11], v[6:7], off
	s_mul_i32 s2, s9, 56
	s_mul_hi_u32 s3, s8, 56
	s_waitcnt lgkmcnt(0)
	v_mul_f32_e32 v6, v30, v1
	v_fmac_f32_e32 v6, v29, v0
	v_mul_f32_e32 v0, v30, v0
	v_fma_f32 v0, v29, v1, -v0
	v_mul_f64 v[4:5], v[4:5], s[0:1]
	v_cvt_f64_f32_e32 v[0:1], v0
	v_cvt_f64_f32_e32 v[6:7], v6
	s_add_i32 s2, s3, s2
	s_mul_i32 s3, s8, 56
	v_mul_f64 v[0:1], v[0:1], s[0:1]
	v_mul_f64 v[6:7], v[6:7], s[0:1]
	v_cvt_f32_f64_e32 v4, v[4:5]
	v_cvt_f32_f64_e32 v5, v[8:9]
	v_mov_b32_e32 v9, s2
	v_add_co_u32_e32 v8, vcc, s3, v10
	v_addc_co_u32_e32 v9, vcc, v11, v9, vcc
	global_store_dwordx2 v[8:9], v[4:5], off
	v_cvt_f32_f64_e32 v5, v[0:1]
	v_mul_f32_e32 v0, v28, v3
	v_fmac_f32_e32 v0, v27, v2
	v_mul_f32_e32 v2, v28, v2
	v_fma_f32 v2, v27, v3, -v2
	v_cvt_f32_f64_e32 v4, v[6:7]
	v_cvt_f64_f32_e32 v[0:1], v0
	v_cvt_f64_f32_e32 v[2:3], v2
	ds_read_b64 v[6:7], v40 offset:224
	v_mov_b32_e32 v10, s2
	v_add_co_u32_e32 v8, vcc, s3, v8
	v_addc_co_u32_e32 v9, vcc, v9, v10, vcc
	v_mul_f64 v[0:1], v[0:1], s[0:1]
	v_mul_f64 v[2:3], v[2:3], s[0:1]
	global_store_dwordx2 v[8:9], v[4:5], off
	s_waitcnt lgkmcnt(0)
	v_mul_f32_e32 v4, v26, v7
	v_fmac_f32_e32 v4, v25, v6
	v_mul_f32_e32 v6, v26, v6
	v_fma_f32 v6, v25, v7, -v6
	v_cvt_f64_f32_e32 v[4:5], v4
	v_cvt_f64_f32_e32 v[6:7], v6
	v_cvt_f32_f64_e32 v0, v[0:1]
	v_cvt_f32_f64_e32 v1, v[2:3]
	v_mul_f64 v[2:3], v[4:5], s[0:1]
	v_mul_f64 v[4:5], v[6:7], s[0:1]
	v_mov_b32_e32 v7, s2
	v_add_co_u32_e32 v6, vcc, s3, v8
	v_addc_co_u32_e32 v7, vcc, v9, v7, vcc
	global_store_dwordx2 v[6:7], v[0:1], off
	v_cvt_f32_f64_e32 v0, v[2:3]
	v_cvt_f32_f64_e32 v1, v[4:5]
	v_mov_b32_e32 v3, s2
	v_add_co_u32_e32 v2, vcc, s3, v6
	v_addc_co_u32_e32 v3, vcc, v7, v3, vcc
	global_store_dwordx2 v[2:3], v[0:1], off
.LBB0_10:
	s_endpgm
	.section	.rodata,"a",@progbits
	.p2align	6, 0x0
	.amdhsa_kernel bluestein_single_fwd_len35_dim1_sp_op_CI_CI
		.amdhsa_group_segment_fixed_size 10080
		.amdhsa_private_segment_fixed_size 0
		.amdhsa_kernarg_size 104
		.amdhsa_user_sgpr_count 6
		.amdhsa_user_sgpr_private_segment_buffer 1
		.amdhsa_user_sgpr_dispatch_ptr 0
		.amdhsa_user_sgpr_queue_ptr 0
		.amdhsa_user_sgpr_kernarg_segment_ptr 1
		.amdhsa_user_sgpr_dispatch_id 0
		.amdhsa_user_sgpr_flat_scratch_init 0
		.amdhsa_user_sgpr_private_segment_size 0
		.amdhsa_uses_dynamic_stack 0
		.amdhsa_system_sgpr_private_segment_wavefront_offset 0
		.amdhsa_system_sgpr_workgroup_id_x 1
		.amdhsa_system_sgpr_workgroup_id_y 0
		.amdhsa_system_sgpr_workgroup_id_z 0
		.amdhsa_system_sgpr_workgroup_info 0
		.amdhsa_system_vgpr_workitem_id 0
		.amdhsa_next_free_vgpr 58
		.amdhsa_next_free_sgpr 20
		.amdhsa_reserve_vcc 1
		.amdhsa_reserve_flat_scratch 0
		.amdhsa_float_round_mode_32 0
		.amdhsa_float_round_mode_16_64 0
		.amdhsa_float_denorm_mode_32 3
		.amdhsa_float_denorm_mode_16_64 3
		.amdhsa_dx10_clamp 1
		.amdhsa_ieee_mode 1
		.amdhsa_fp16_overflow 0
		.amdhsa_exception_fp_ieee_invalid_op 0
		.amdhsa_exception_fp_denorm_src 0
		.amdhsa_exception_fp_ieee_div_zero 0
		.amdhsa_exception_fp_ieee_overflow 0
		.amdhsa_exception_fp_ieee_underflow 0
		.amdhsa_exception_fp_ieee_inexact 0
		.amdhsa_exception_int_div_zero 0
	.end_amdhsa_kernel
	.text
.Lfunc_end0:
	.size	bluestein_single_fwd_len35_dim1_sp_op_CI_CI, .Lfunc_end0-bluestein_single_fwd_len35_dim1_sp_op_CI_CI
                                        ; -- End function
	.section	.AMDGPU.csdata,"",@progbits
; Kernel info:
; codeLenInByte = 3616
; NumSgprs: 24
; NumVgprs: 58
; ScratchSize: 0
; MemoryBound: 0
; FloatMode: 240
; IeeeMode: 1
; LDSByteSize: 10080 bytes/workgroup (compile time only)
; SGPRBlocks: 2
; VGPRBlocks: 14
; NumSGPRsForWavesPerEU: 24
; NumVGPRsForWavesPerEU: 58
; Occupancy: 4
; WaveLimiterHint : 1
; COMPUTE_PGM_RSRC2:SCRATCH_EN: 0
; COMPUTE_PGM_RSRC2:USER_SGPR: 6
; COMPUTE_PGM_RSRC2:TRAP_HANDLER: 0
; COMPUTE_PGM_RSRC2:TGID_X_EN: 1
; COMPUTE_PGM_RSRC2:TGID_Y_EN: 0
; COMPUTE_PGM_RSRC2:TGID_Z_EN: 0
; COMPUTE_PGM_RSRC2:TIDIG_COMP_CNT: 0
	.type	__hip_cuid_fbc063a628b63c96,@object ; @__hip_cuid_fbc063a628b63c96
	.section	.bss,"aw",@nobits
	.globl	__hip_cuid_fbc063a628b63c96
__hip_cuid_fbc063a628b63c96:
	.byte	0                               ; 0x0
	.size	__hip_cuid_fbc063a628b63c96, 1

	.ident	"AMD clang version 19.0.0git (https://github.com/RadeonOpenCompute/llvm-project roc-6.4.0 25133 c7fe45cf4b819c5991fe208aaa96edf142730f1d)"
	.section	".note.GNU-stack","",@progbits
	.addrsig
	.addrsig_sym __hip_cuid_fbc063a628b63c96
	.amdgpu_metadata
---
amdhsa.kernels:
  - .args:
      - .actual_access:  read_only
        .address_space:  global
        .offset:         0
        .size:           8
        .value_kind:     global_buffer
      - .actual_access:  read_only
        .address_space:  global
        .offset:         8
        .size:           8
        .value_kind:     global_buffer
      - .actual_access:  read_only
        .address_space:  global
        .offset:         16
        .size:           8
        .value_kind:     global_buffer
      - .actual_access:  read_only
        .address_space:  global
        .offset:         24
        .size:           8
        .value_kind:     global_buffer
      - .actual_access:  read_only
        .address_space:  global
        .offset:         32
        .size:           8
        .value_kind:     global_buffer
      - .offset:         40
        .size:           8
        .value_kind:     by_value
      - .address_space:  global
        .offset:         48
        .size:           8
        .value_kind:     global_buffer
      - .address_space:  global
        .offset:         56
        .size:           8
        .value_kind:     global_buffer
      - .address_space:  global
        .offset:         64
        .size:           8
        .value_kind:     global_buffer
      - .address_space:  global
        .offset:         72
        .size:           8
        .value_kind:     global_buffer
      - .offset:         80
        .size:           4
        .value_kind:     by_value
      - .address_space:  global
        .offset:         88
        .size:           8
        .value_kind:     global_buffer
      - .address_space:  global
        .offset:         96
        .size:           8
        .value_kind:     global_buffer
    .group_segment_fixed_size: 10080
    .kernarg_segment_align: 8
    .kernarg_segment_size: 104
    .language:       OpenCL C
    .language_version:
      - 2
      - 0
    .max_flat_workgroup_size: 252
    .name:           bluestein_single_fwd_len35_dim1_sp_op_CI_CI
    .private_segment_fixed_size: 0
    .sgpr_count:     24
    .sgpr_spill_count: 0
    .symbol:         bluestein_single_fwd_len35_dim1_sp_op_CI_CI.kd
    .uniform_work_group_size: 1
    .uses_dynamic_stack: false
    .vgpr_count:     58
    .vgpr_spill_count: 0
    .wavefront_size: 64
amdhsa.target:   amdgcn-amd-amdhsa--gfx906
amdhsa.version:
  - 1
  - 2
...

	.end_amdgpu_metadata
